;; amdgpu-corpus repo=ROCm/rocFFT kind=compiled arch=gfx906 opt=O3
	.text
	.amdgcn_target "amdgcn-amd-amdhsa--gfx906"
	.amdhsa_code_object_version 6
	.protected	fft_rtc_fwd_len1152_factors_4_3_8_3_4_wgs_144_tpt_144_halfLds_sp_op_CI_CI_unitstride_sbrr_C2R_dirReg ; -- Begin function fft_rtc_fwd_len1152_factors_4_3_8_3_4_wgs_144_tpt_144_halfLds_sp_op_CI_CI_unitstride_sbrr_C2R_dirReg
	.globl	fft_rtc_fwd_len1152_factors_4_3_8_3_4_wgs_144_tpt_144_halfLds_sp_op_CI_CI_unitstride_sbrr_C2R_dirReg
	.p2align	8
	.type	fft_rtc_fwd_len1152_factors_4_3_8_3_4_wgs_144_tpt_144_halfLds_sp_op_CI_CI_unitstride_sbrr_C2R_dirReg,@function
fft_rtc_fwd_len1152_factors_4_3_8_3_4_wgs_144_tpt_144_halfLds_sp_op_CI_CI_unitstride_sbrr_C2R_dirReg: ; @fft_rtc_fwd_len1152_factors_4_3_8_3_4_wgs_144_tpt_144_halfLds_sp_op_CI_CI_unitstride_sbrr_C2R_dirReg
; %bb.0:
	s_load_dwordx4 s[8:11], s[4:5], 0x58
	s_load_dwordx4 s[12:15], s[4:5], 0x0
	;; [unrolled: 1-line block ×3, first 2 shown]
	v_mul_u32_u24_e32 v1, 0x1c8, v0
	v_add_u32_sdwa v5, s6, v1 dst_sel:DWORD dst_unused:UNUSED_PAD src0_sel:DWORD src1_sel:WORD_1
	v_mov_b32_e32 v3, 0
	s_waitcnt lgkmcnt(0)
	v_cmp_lt_u64_e64 s[0:1], s[14:15], 2
	v_mov_b32_e32 v1, 0
	v_mov_b32_e32 v6, v3
	s_and_b64 vcc, exec, s[0:1]
	v_mov_b32_e32 v2, 0
	s_cbranch_vccnz .LBB0_8
; %bb.1:
	s_load_dwordx2 s[0:1], s[4:5], 0x10
	s_add_u32 s2, s18, 8
	s_addc_u32 s3, s19, 0
	s_add_u32 s6, s16, 8
	v_mov_b32_e32 v1, 0
	s_addc_u32 s7, s17, 0
	v_mov_b32_e32 v2, 0
	s_waitcnt lgkmcnt(0)
	s_add_u32 s20, s0, 8
	v_mov_b32_e32 v17, v2
	s_addc_u32 s21, s1, 0
	s_mov_b64 s[22:23], 1
	v_mov_b32_e32 v16, v1
.LBB0_2:                                ; =>This Inner Loop Header: Depth=1
	s_load_dwordx2 s[24:25], s[20:21], 0x0
                                        ; implicit-def: $vgpr18_vgpr19
	s_waitcnt lgkmcnt(0)
	v_or_b32_e32 v4, s25, v6
	v_cmp_ne_u64_e32 vcc, 0, v[3:4]
	s_and_saveexec_b64 s[0:1], vcc
	s_xor_b64 s[26:27], exec, s[0:1]
	s_cbranch_execz .LBB0_4
; %bb.3:                                ;   in Loop: Header=BB0_2 Depth=1
	v_cvt_f32_u32_e32 v4, s24
	v_cvt_f32_u32_e32 v7, s25
	s_sub_u32 s0, 0, s24
	s_subb_u32 s1, 0, s25
	v_mac_f32_e32 v4, 0x4f800000, v7
	v_rcp_f32_e32 v4, v4
	v_mul_f32_e32 v4, 0x5f7ffffc, v4
	v_mul_f32_e32 v7, 0x2f800000, v4
	v_trunc_f32_e32 v7, v7
	v_mac_f32_e32 v4, 0xcf800000, v7
	v_cvt_u32_f32_e32 v7, v7
	v_cvt_u32_f32_e32 v4, v4
	v_mul_lo_u32 v8, s0, v7
	v_mul_hi_u32 v9, s0, v4
	v_mul_lo_u32 v11, s1, v4
	v_mul_lo_u32 v10, s0, v4
	v_add_u32_e32 v8, v9, v8
	v_add_u32_e32 v8, v8, v11
	v_mul_hi_u32 v9, v4, v10
	v_mul_lo_u32 v11, v4, v8
	v_mul_hi_u32 v13, v4, v8
	v_mul_hi_u32 v12, v7, v10
	v_mul_lo_u32 v10, v7, v10
	v_mul_hi_u32 v14, v7, v8
	v_add_co_u32_e32 v9, vcc, v9, v11
	v_addc_co_u32_e32 v11, vcc, 0, v13, vcc
	v_mul_lo_u32 v8, v7, v8
	v_add_co_u32_e32 v9, vcc, v9, v10
	v_addc_co_u32_e32 v9, vcc, v11, v12, vcc
	v_addc_co_u32_e32 v10, vcc, 0, v14, vcc
	v_add_co_u32_e32 v8, vcc, v9, v8
	v_addc_co_u32_e32 v9, vcc, 0, v10, vcc
	v_add_co_u32_e32 v4, vcc, v4, v8
	v_addc_co_u32_e32 v7, vcc, v7, v9, vcc
	v_mul_lo_u32 v8, s0, v7
	v_mul_hi_u32 v9, s0, v4
	v_mul_lo_u32 v10, s1, v4
	v_mul_lo_u32 v11, s0, v4
	v_add_u32_e32 v8, v9, v8
	v_add_u32_e32 v8, v8, v10
	v_mul_lo_u32 v12, v4, v8
	v_mul_hi_u32 v13, v4, v11
	v_mul_hi_u32 v14, v4, v8
	v_mul_hi_u32 v10, v7, v11
	v_mul_lo_u32 v11, v7, v11
	v_mul_hi_u32 v9, v7, v8
	v_add_co_u32_e32 v12, vcc, v13, v12
	v_addc_co_u32_e32 v13, vcc, 0, v14, vcc
	v_mul_lo_u32 v8, v7, v8
	v_add_co_u32_e32 v11, vcc, v12, v11
	v_addc_co_u32_e32 v10, vcc, v13, v10, vcc
	v_addc_co_u32_e32 v9, vcc, 0, v9, vcc
	v_add_co_u32_e32 v8, vcc, v10, v8
	v_addc_co_u32_e32 v9, vcc, 0, v9, vcc
	v_add_co_u32_e32 v4, vcc, v4, v8
	v_addc_co_u32_e32 v9, vcc, v7, v9, vcc
	v_mad_u64_u32 v[7:8], s[0:1], v5, v9, 0
	v_mul_hi_u32 v10, v5, v4
	v_add_co_u32_e32 v11, vcc, v10, v7
	v_addc_co_u32_e32 v12, vcc, 0, v8, vcc
	v_mad_u64_u32 v[7:8], s[0:1], v6, v4, 0
	v_mad_u64_u32 v[9:10], s[0:1], v6, v9, 0
	v_add_co_u32_e32 v4, vcc, v11, v7
	v_addc_co_u32_e32 v4, vcc, v12, v8, vcc
	v_addc_co_u32_e32 v7, vcc, 0, v10, vcc
	v_add_co_u32_e32 v4, vcc, v4, v9
	v_addc_co_u32_e32 v9, vcc, 0, v7, vcc
	v_mul_lo_u32 v10, s25, v4
	v_mul_lo_u32 v11, s24, v9
	v_mad_u64_u32 v[7:8], s[0:1], s24, v4, 0
	v_add3_u32 v8, v8, v11, v10
	v_sub_u32_e32 v10, v6, v8
	v_mov_b32_e32 v11, s25
	v_sub_co_u32_e32 v7, vcc, v5, v7
	v_subb_co_u32_e64 v10, s[0:1], v10, v11, vcc
	v_subrev_co_u32_e64 v11, s[0:1], s24, v7
	v_subbrev_co_u32_e64 v10, s[0:1], 0, v10, s[0:1]
	v_cmp_le_u32_e64 s[0:1], s25, v10
	v_cndmask_b32_e64 v12, 0, -1, s[0:1]
	v_cmp_le_u32_e64 s[0:1], s24, v11
	v_cndmask_b32_e64 v11, 0, -1, s[0:1]
	v_cmp_eq_u32_e64 s[0:1], s25, v10
	v_cndmask_b32_e64 v10, v12, v11, s[0:1]
	v_add_co_u32_e64 v11, s[0:1], 2, v4
	v_addc_co_u32_e64 v12, s[0:1], 0, v9, s[0:1]
	v_add_co_u32_e64 v13, s[0:1], 1, v4
	v_addc_co_u32_e64 v14, s[0:1], 0, v9, s[0:1]
	v_subb_co_u32_e32 v8, vcc, v6, v8, vcc
	v_cmp_ne_u32_e64 s[0:1], 0, v10
	v_cmp_le_u32_e32 vcc, s25, v8
	v_cndmask_b32_e64 v10, v14, v12, s[0:1]
	v_cndmask_b32_e64 v12, 0, -1, vcc
	v_cmp_le_u32_e32 vcc, s24, v7
	v_cndmask_b32_e64 v7, 0, -1, vcc
	v_cmp_eq_u32_e32 vcc, s25, v8
	v_cndmask_b32_e32 v7, v12, v7, vcc
	v_cmp_ne_u32_e32 vcc, 0, v7
	v_cndmask_b32_e64 v7, v13, v11, s[0:1]
	v_cndmask_b32_e32 v19, v9, v10, vcc
	v_cndmask_b32_e32 v18, v4, v7, vcc
.LBB0_4:                                ;   in Loop: Header=BB0_2 Depth=1
	s_andn2_saveexec_b64 s[0:1], s[26:27]
	s_cbranch_execz .LBB0_6
; %bb.5:                                ;   in Loop: Header=BB0_2 Depth=1
	v_cvt_f32_u32_e32 v4, s24
	s_sub_i32 s26, 0, s24
	v_mov_b32_e32 v19, v3
	v_rcp_iflag_f32_e32 v4, v4
	v_mul_f32_e32 v4, 0x4f7ffffe, v4
	v_cvt_u32_f32_e32 v4, v4
	v_mul_lo_u32 v7, s26, v4
	v_mul_hi_u32 v7, v4, v7
	v_add_u32_e32 v4, v4, v7
	v_mul_hi_u32 v4, v5, v4
	v_mul_lo_u32 v7, v4, s24
	v_add_u32_e32 v8, 1, v4
	v_sub_u32_e32 v7, v5, v7
	v_subrev_u32_e32 v9, s24, v7
	v_cmp_le_u32_e32 vcc, s24, v7
	v_cndmask_b32_e32 v7, v7, v9, vcc
	v_cndmask_b32_e32 v4, v4, v8, vcc
	v_add_u32_e32 v8, 1, v4
	v_cmp_le_u32_e32 vcc, s24, v7
	v_cndmask_b32_e32 v18, v4, v8, vcc
.LBB0_6:                                ;   in Loop: Header=BB0_2 Depth=1
	s_or_b64 exec, exec, s[0:1]
	v_mul_lo_u32 v4, v19, s24
	v_mul_lo_u32 v9, v18, s25
	v_mad_u64_u32 v[7:8], s[0:1], v18, s24, 0
	s_load_dwordx2 s[0:1], s[6:7], 0x0
	s_load_dwordx2 s[24:25], s[2:3], 0x0
	v_add3_u32 v4, v8, v9, v4
	v_sub_co_u32_e32 v5, vcc, v5, v7
	v_subb_co_u32_e32 v4, vcc, v6, v4, vcc
	s_waitcnt lgkmcnt(0)
	v_mul_lo_u32 v6, s0, v4
	v_mul_lo_u32 v7, s1, v5
	v_mad_u64_u32 v[1:2], s[0:1], s0, v5, v[1:2]
	v_mul_lo_u32 v4, s24, v4
	v_mul_lo_u32 v8, s25, v5
	v_mad_u64_u32 v[16:17], s[0:1], s24, v5, v[16:17]
	s_add_u32 s22, s22, 1
	s_addc_u32 s23, s23, 0
	s_add_u32 s2, s2, 8
	v_add3_u32 v17, v8, v17, v4
	s_addc_u32 s3, s3, 0
	v_mov_b32_e32 v4, s14
	s_add_u32 s6, s6, 8
	v_mov_b32_e32 v5, s15
	s_addc_u32 s7, s7, 0
	v_cmp_ge_u64_e32 vcc, s[22:23], v[4:5]
	s_add_u32 s20, s20, 8
	v_add3_u32 v2, v7, v2, v6
	s_addc_u32 s21, s21, 0
	s_cbranch_vccnz .LBB0_9
; %bb.7:                                ;   in Loop: Header=BB0_2 Depth=1
	v_mov_b32_e32 v5, v18
	v_mov_b32_e32 v6, v19
	s_branch .LBB0_2
.LBB0_8:
	v_mov_b32_e32 v17, v2
	v_mov_b32_e32 v19, v6
	;; [unrolled: 1-line block ×4, first 2 shown]
.LBB0_9:
	s_load_dwordx2 s[2:3], s[4:5], 0x28
	s_lshl_b64 s[6:7], s[14:15], 3
	s_add_u32 s4, s18, s6
	s_addc_u32 s5, s19, s7
                                        ; implicit-def: $vgpr20
	s_waitcnt lgkmcnt(0)
	v_cmp_gt_u64_e64 s[0:1], s[2:3], v[18:19]
	v_cmp_le_u64_e32 vcc, s[2:3], v[18:19]
	s_and_saveexec_b64 s[2:3], vcc
	s_xor_b64 s[2:3], exec, s[2:3]
; %bb.10:
	s_mov_b32 s14, 0x1c71c72
	v_mul_hi_u32 v1, v0, s14
	v_mul_u32_u24_e32 v1, 0x90, v1
	v_sub_u32_e32 v20, v0, v1
                                        ; implicit-def: $vgpr0
                                        ; implicit-def: $vgpr1_vgpr2
; %bb.11:
	s_or_saveexec_b64 s[2:3], s[2:3]
	s_load_dwordx2 s[4:5], s[4:5], 0x0
	s_xor_b64 exec, exec, s[2:3]
	s_cbranch_execz .LBB0_15
; %bb.12:
	s_add_u32 s6, s16, s6
	s_addc_u32 s7, s17, s7
	s_load_dwordx2 s[6:7], s[6:7], 0x0
	s_mov_b32 s14, 0x1c71c72
	v_mul_hi_u32 v5, v0, s14
	v_lshlrev_b64 v[1:2], 3, v[1:2]
	s_waitcnt lgkmcnt(0)
	v_mul_lo_u32 v6, s7, v18
	v_mul_lo_u32 v7, s6, v19
	v_mad_u64_u32 v[3:4], s[6:7], s6, v18, 0
	v_mul_u32_u24_e32 v5, 0x90, v5
	v_sub_u32_e32 v20, v0, v5
	v_add3_u32 v4, v4, v7, v6
	v_lshlrev_b64 v[3:4], 3, v[3:4]
	v_mov_b32_e32 v0, s9
	v_add_co_u32_e32 v3, vcc, s8, v3
	v_addc_co_u32_e32 v0, vcc, v0, v4, vcc
	v_add_co_u32_e32 v1, vcc, v3, v1
	v_addc_co_u32_e32 v0, vcc, v0, v2, vcc
	v_lshlrev_b32_e32 v25, 3, v20
	v_add_co_u32_e32 v2, vcc, v1, v25
	v_addc_co_u32_e32 v3, vcc, 0, v0, vcc
	s_movk_i32 s6, 0x1000
	global_load_dwordx2 v[4:5], v[2:3], off offset:3456
	global_load_dwordx2 v[6:7], v[2:3], off
	global_load_dwordx2 v[8:9], v[2:3], off offset:2304
	global_load_dwordx2 v[10:11], v[2:3], off offset:1152
	v_add_co_u32_e32 v2, vcc, s6, v2
	v_addc_co_u32_e32 v3, vcc, 0, v3, vcc
	global_load_dwordx2 v[12:13], v[2:3], off offset:512
	global_load_dwordx2 v[14:15], v[2:3], off offset:1664
	;; [unrolled: 1-line block ×4, first 2 shown]
	s_movk_i32 s6, 0x8f
	v_add_u32_e32 v2, 0, v25
	v_add_u32_e32 v3, 0x800, v2
	v_cmp_eq_u32_e32 vcc, s6, v20
	v_add_u32_e32 v25, 0x1000, v2
	v_add_u32_e32 v26, 0x1800, v2
	s_waitcnt vmcnt(5)
	ds_write2_b64 v3, v[8:9], v[4:5] offset0:32 offset1:176
	s_waitcnt vmcnt(4)
	ds_write2_b64 v2, v[6:7], v[10:11] offset1:144
	s_waitcnt vmcnt(2)
	ds_write2_b64 v25, v[12:13], v[14:15] offset0:64 offset1:208
	s_waitcnt vmcnt(0)
	ds_write2_b64 v26, v[21:22], v[23:24] offset0:96 offset1:240
	s_and_saveexec_b64 s[6:7], vcc
	s_cbranch_execz .LBB0_14
; %bb.13:
	v_add_co_u32_e32 v1, vcc, 0x2000, v1
	v_addc_co_u32_e32 v2, vcc, 0, v0, vcc
	global_load_dwordx2 v[0:1], v[1:2], off offset:1024
	v_mov_b32_e32 v2, 0
	v_mov_b32_e32 v20, 0x8f
	s_waitcnt vmcnt(0)
	ds_write_b64 v2, v[0:1] offset:9216
.LBB0_14:
	s_or_b64 exec, exec, s[6:7]
.LBB0_15:
	s_or_b64 exec, exec, s[2:3]
	v_lshlrev_b32_e32 v0, 3, v20
	v_add_u32_e32 v23, 0, v0
	s_waitcnt lgkmcnt(0)
	s_barrier
	v_sub_u32_e32 v4, 0, v0
	ds_read_b32 v1, v23
	ds_read_b32 v2, v4 offset:9216
	s_add_u32 s6, s12, 0x23e0
	s_addc_u32 s7, s13, 0
	v_cmp_ne_u32_e32 vcc, 0, v20
	s_waitcnt lgkmcnt(0)
	v_add_f32_e32 v0, v2, v1
	v_sub_f32_e32 v1, v1, v2
                                        ; implicit-def: $vgpr2_vgpr3
	s_and_saveexec_b64 s[2:3], vcc
	s_xor_b64 s[2:3], exec, s[2:3]
	s_cbranch_execz .LBB0_17
; %bb.16:
	v_mov_b32_e32 v21, 0
	v_lshlrev_b64 v[2:3], 3, v[20:21]
	v_mov_b32_e32 v5, s7
	v_add_co_u32_e32 v2, vcc, s6, v2
	v_addc_co_u32_e32 v3, vcc, v5, v3, vcc
	global_load_dwordx2 v[2:3], v[2:3], off
	ds_read_b32 v5, v4 offset:9220
	ds_read_b32 v6, v23 offset:4
	s_waitcnt lgkmcnt(0)
	v_add_f32_e32 v9, v5, v6
	v_sub_f32_e32 v5, v6, v5
	s_waitcnt vmcnt(0)
	v_fma_f32 v10, v1, v3, v0
	v_fma_f32 v6, v9, v3, v5
	v_fma_f32 v7, -v1, v3, v0
	v_fma_f32 v8, v9, v3, -v5
	v_fma_f32 v5, -v2, v9, v10
	v_fmac_f32_e32 v6, v1, v2
	v_fmac_f32_e32 v7, v2, v9
	;; [unrolled: 1-line block ×3, first 2 shown]
	v_mov_b32_e32 v2, v20
	ds_write_b64 v23, v[5:6]
	ds_write_b64 v4, v[7:8] offset:9216
	v_mov_b32_e32 v3, v21
                                        ; implicit-def: $vgpr0
.LBB0_17:
	s_andn2_saveexec_b64 s[2:3], s[2:3]
	s_cbranch_execz .LBB0_19
; %bb.18:
	ds_write_b64 v23, v[0:1]
	v_mov_b32_e32 v5, 0
	ds_read_b64 v[0:1], v5 offset:4608
	v_mov_b32_e32 v2, 0
	v_mov_b32_e32 v3, 0
	s_waitcnt lgkmcnt(0)
	v_add_f32_e32 v0, v0, v0
	v_mul_f32_e32 v1, -2.0, v1
	ds_write_b64 v5, v[0:1] offset:4608
.LBB0_19:
	s_or_b64 exec, exec, s[2:3]
	v_lshlrev_b64 v[0:1], 3, v[2:3]
	v_mov_b32_e32 v2, s7
	v_add_co_u32_e32 v0, vcc, s6, v0
	v_addc_co_u32_e32 v1, vcc, v2, v1, vcc
	global_load_dwordx2 v[2:3], v[0:1], off offset:1152
	global_load_dwordx2 v[5:6], v[0:1], off offset:2304
	;; [unrolled: 1-line block ×3, first 2 shown]
	ds_read_b64 v[0:1], v23 offset:1152
	ds_read_b64 v[9:10], v4 offset:8064
	v_add_u32_e32 v21, 0x1800, v23
	v_mad_u32_u24 v22, v20, 24, v23
	v_add_u32_e32 v24, 0x90, v20
	v_lshl_add_u32 v25, v24, 5, 0
	s_waitcnt lgkmcnt(0)
	v_add_f32_e32 v11, v0, v9
	v_add_f32_e32 v12, v10, v1
	v_sub_f32_e32 v13, v0, v9
	v_sub_f32_e32 v0, v1, v10
	s_movk_i32 s2, 0x60
	v_cmp_gt_u32_e32 vcc, s2, v20
	s_waitcnt vmcnt(2)
	v_fma_f32 v14, v13, v3, v11
	v_fma_f32 v1, v12, v3, v0
	v_fma_f32 v9, -v13, v3, v11
	v_fma_f32 v10, v12, v3, -v0
	v_fma_f32 v0, -v2, v12, v14
	v_fmac_f32_e32 v1, v13, v2
	v_fmac_f32_e32 v9, v2, v12
	;; [unrolled: 1-line block ×3, first 2 shown]
	ds_write_b64 v23, v[0:1] offset:1152
	ds_write_b64 v4, v[9:10] offset:8064
	ds_read_b64 v[0:1], v23 offset:2304
	ds_read_b64 v[2:3], v4 offset:6912
	v_add_u32_e32 v9, 0x1000, v23
	v_add_u32_e32 v10, 0x800, v23
	s_waitcnt lgkmcnt(0)
	v_add_f32_e32 v11, v0, v2
	v_add_f32_e32 v12, v3, v1
	v_sub_f32_e32 v13, v0, v2
	v_sub_f32_e32 v0, v1, v3
	s_waitcnt vmcnt(1)
	v_fma_f32 v14, v13, v6, v11
	v_fma_f32 v1, v12, v6, v0
	v_fma_f32 v2, -v13, v6, v11
	v_fma_f32 v3, v12, v6, -v0
	v_fma_f32 v0, -v5, v12, v14
	v_fmac_f32_e32 v1, v13, v5
	v_fmac_f32_e32 v2, v5, v12
	;; [unrolled: 1-line block ×3, first 2 shown]
	ds_write_b64 v23, v[0:1] offset:2304
	ds_write_b64 v4, v[2:3] offset:6912
	ds_read_b64 v[0:1], v23 offset:3456
	ds_read_b64 v[2:3], v4 offset:5760
	s_waitcnt lgkmcnt(0)
	v_add_f32_e32 v5, v0, v2
	v_add_f32_e32 v6, v3, v1
	v_sub_f32_e32 v11, v0, v2
	v_sub_f32_e32 v0, v1, v3
	s_waitcnt vmcnt(0)
	v_fma_f32 v12, v11, v8, v5
	v_fma_f32 v1, v6, v8, v0
	v_fma_f32 v2, -v11, v8, v5
	v_fma_f32 v3, v6, v8, -v0
	v_fma_f32 v0, -v7, v6, v12
	v_fmac_f32_e32 v1, v11, v7
	v_fmac_f32_e32 v2, v7, v6
	;; [unrolled: 1-line block ×3, first 2 shown]
	ds_write_b64 v23, v[0:1] offset:3456
	ds_write_b64 v4, v[2:3] offset:5760
	s_waitcnt lgkmcnt(0)
	s_barrier
	s_barrier
	ds_read2_b64 v[0:3], v23 offset1:144
	ds_read2_b64 v[4:7], v9 offset0:64 offset1:208
	ds_read2_b64 v[8:11], v10 offset0:32 offset1:176
	ds_read2_b64 v[12:15], v21 offset0:96 offset1:240
	s_waitcnt lgkmcnt(0)
	s_barrier
	v_sub_f32_e32 v26, v0, v4
	v_sub_f32_e32 v27, v1, v5
	;; [unrolled: 1-line block ×8, first 2 shown]
	v_fma_f32 v12, v0, 2.0, -v26
	v_fma_f32 v13, v1, 2.0, -v27
	;; [unrolled: 1-line block ×8, first 2 shown]
	v_sub_f32_e32 v4, v26, v4
	v_add_f32_e32 v5, v27, v5
	v_sub_f32_e32 v2, v28, v7
	v_add_f32_e32 v3, v29, v6
	v_sub_f32_e32 v6, v12, v0
	v_sub_f32_e32 v7, v13, v1
	;; [unrolled: 1-line block ×4, first 2 shown]
	v_fma_f32 v8, v26, 2.0, -v4
	v_fma_f32 v9, v27, 2.0, -v5
	ds_write2_b64 v22, v[6:7], v[4:5] offset0:2 offset1:3
	v_fma_f32 v4, v12, 2.0, -v6
	v_fma_f32 v5, v13, 2.0, -v7
	;; [unrolled: 1-line block ×6, first 2 shown]
	ds_write2_b64 v22, v[4:5], v[8:9] offset1:1
	ds_write2_b64 v25, v[6:7], v[10:11] offset1:1
	ds_write2_b64 v25, v[0:1], v[2:3] offset0:2 offset1:3
	s_waitcnt lgkmcnt(0)
	s_barrier
	ds_read2_b64 v[4:7], v23 offset1:144
	s_waitcnt lgkmcnt(0)
	v_add_u32_e32 v7, 0xc00, v23
	ds_read2_b64 v[12:15], v7 offset1:144
	ds_read2_b64 v[8:11], v21 offset1:144
	ds_read_b32 v7, v23 offset:1156
                                        ; implicit-def: $vgpr22
	s_and_saveexec_b64 s[2:3], vcc
	s_cbranch_execz .LBB0_21
; %bb.20:
	v_add_u32_e32 v0, 0x100, v23
	ds_read2st64_b64 v[0:3], v0 offset0:4 offset1:10
	ds_read_b64 v[21:22], v23 offset:8448
.LBB0_21:
	s_or_b64 exec, exec, s[2:3]
	v_and_b32_e32 v26, 3, v20
	v_lshlrev_b32_e32 v25, 4, v26
	global_load_dwordx4 v[27:30], v25, s[12:13]
	v_lshrrev_b32_e32 v31, 2, v20
	s_waitcnt vmcnt(0) lgkmcnt(0)
	s_barrier
	v_add_u32_e32 v25, 0x120, v20
	v_mul_f32_e32 v32, v28, v13
	v_mul_f32_e32 v33, v28, v12
	;; [unrolled: 1-line block ×4, first 2 shown]
	v_fma_f32 v12, v27, v12, -v32
	v_fmac_f32_e32 v33, v27, v13
	v_fma_f32 v32, v27, v14, -v34
	v_mul_f32_e32 v13, v30, v9
	v_mul_f32_e32 v14, v30, v8
	v_fma_f32 v13, v29, v8, -v13
	v_fmac_f32_e32 v14, v29, v9
	v_lshrrev_b32_e32 v8, 2, v24
	v_mul_u32_u24_e32 v9, 12, v31
	v_fmac_f32_e32 v35, v27, v15
	v_mul_f32_e32 v15, v30, v11
	v_mul_f32_e32 v34, v30, v10
	v_mul_u32_u24_e32 v8, 12, v8
	v_or_b32_e32 v9, v9, v26
	v_fma_f32 v15, v29, v10, -v15
	v_fmac_f32_e32 v34, v29, v11
	v_or_b32_e32 v8, v8, v26
	v_lshl_add_u32 v31, v9, 3, 0
	v_mul_f32_e32 v9, v21, v30
	v_mul_f32_e32 v11, v3, v28
	;; [unrolled: 1-line block ×3, first 2 shown]
	v_lshl_add_u32 v36, v8, 3, 0
	v_mul_f32_e32 v8, v22, v30
	v_fmac_f32_e32 v9, v22, v29
	v_fma_f32 v2, v2, v27, -v11
	v_fmac_f32_e32 v10, v3, v27
	v_add_f32_e32 v3, v33, v5
	v_add_f32_e32 v22, v33, v14
	;; [unrolled: 1-line block ×4, first 2 shown]
	v_fma_f32 v8, v21, v29, -v8
	v_sub_f32_e32 v21, v33, v14
	v_sub_f32_e32 v29, v12, v13
	v_add_f32_e32 v12, v3, v14
	v_add_f32_e32 v11, v11, v13
	v_fma_f32 v13, -0.5, v27, v4
	v_fma_f32 v14, -0.5, v22, v5
	v_mov_b32_e32 v3, v13
	v_mov_b32_e32 v4, v14
	v_add_f32_e32 v30, v32, v6
	v_fmac_f32_e32 v3, 0x3f5db3d7, v21
	v_fmac_f32_e32 v4, 0xbf5db3d7, v29
	ds_write2_b64 v31, v[11:12], v[3:4] offset1:4
	v_add_f32_e32 v3, v7, v35
	v_add_f32_e32 v4, v35, v34
	;; [unrolled: 1-line block ×3, first 2 shown]
	v_sub_f32_e32 v32, v32, v15
	v_add_f32_e32 v22, v2, v8
	v_add_f32_e32 v27, v30, v15
	;; [unrolled: 1-line block ×4, first 2 shown]
	v_fmac_f32_e32 v6, -0.5, v11
	v_fmac_f32_e32 v7, -0.5, v4
	v_fma_f32 v3, -0.5, v22, v0
	v_fma_f32 v4, -0.5, v15, v1
	v_sub_f32_e32 v12, v35, v34
	v_sub_f32_e32 v5, v10, v9
	;; [unrolled: 1-line block ×3, first 2 shown]
	v_fmac_f32_e32 v13, 0xbf5db3d7, v21
	v_fmac_f32_e32 v14, 0x3f5db3d7, v29
	v_mov_b32_e32 v29, v6
	v_mov_b32_e32 v30, v7
	;; [unrolled: 1-line block ×4, first 2 shown]
	v_fmac_f32_e32 v29, 0x3f5db3d7, v12
	v_fmac_f32_e32 v30, 0xbf5db3d7, v32
	;; [unrolled: 1-line block ×6, first 2 shown]
	ds_write_b64 v31, v[13:14] offset:64
	ds_write2_b64 v36, v[27:28], v[29:30] offset1:4
	ds_write_b64 v36, v[6:7] offset:64
	s_and_saveexec_b64 s[2:3], vcc
	s_cbranch_execz .LBB0_23
; %bb.22:
	v_add_f32_e32 v0, v0, v2
	v_lshrrev_b32_e32 v2, 2, v25
	v_mul_u32_u24_e32 v2, 12, v2
	v_mul_f32_e32 v5, 0x3f5db3d7, v5
	v_mul_f32_e32 v6, 0x3f5db3d7, v11
	v_add_f32_e32 v1, v1, v10
	v_or_b32_e32 v2, v2, v26
	v_add_f32_e32 v1, v1, v9
	v_add_f32_e32 v0, v0, v8
	v_sub_f32_e32 v4, v4, v6
	v_add_f32_e32 v3, v5, v3
	v_lshl_add_u32 v2, v2, 3, 0
	ds_write2_b64 v2, v[0:1], v[3:4] offset1:4
	ds_write_b64 v2, v[21:22] offset:64
.LBB0_23:
	s_or_b64 exec, exec, s[2:3]
	s_movk_i32 s2, 0xab
	v_mul_lo_u16_sdwa v0, v20, s2 dst_sel:DWORD dst_unused:UNUSED_PAD src0_sel:BYTE_0 src1_sel:DWORD
	v_lshrrev_b16_e32 v36, 11, v0
	v_mul_lo_u16_e32 v0, 12, v36
	v_sub_u16_e32 v37, v20, v0
	v_mov_b32_e32 v0, 7
	v_mul_u32_u24_sdwa v0, v37, v0 dst_sel:DWORD dst_unused:UNUSED_PAD src0_sel:BYTE_0 src1_sel:DWORD
	v_lshlrev_b32_e32 v12, 3, v0
	s_waitcnt lgkmcnt(0)
	s_barrier
	global_load_dwordx4 v[0:3], v12, s[12:13] offset:96
	global_load_dwordx4 v[4:7], v12, s[12:13] offset:80
	;; [unrolled: 1-line block ×3, first 2 shown]
	global_load_dwordx2 v[30:31], v12, s[12:13] offset:112
	v_add_u32_e32 v12, 0x1000, v23
	v_add_u32_e32 v38, 0x1800, v23
	ds_read2_b64 v[12:15], v12 offset0:64 offset1:208
	ds_read2_b32 v[32:33], v38 offset0:192 offset1:193
	v_add_u32_e32 v39, 0x800, v23
	ds_read2_b64 v[26:29], v23 offset1:144
	ds_read_b64 v[34:35], v23 offset:8064
	s_waitcnt vmcnt(3) lgkmcnt(2)
	v_mul_f32_e32 v42, v3, v32
	v_mul_f32_e32 v40, v1, v15
	;; [unrolled: 1-line block ×3, first 2 shown]
	v_fmac_f32_e32 v42, v33, v2
	v_mul_f32_e32 v33, v1, v14
	v_fma_f32 v32, v2, v32, -v41
	v_fma_f32 v14, v0, v14, -v40
	v_fmac_f32_e32 v33, v0, v15
	ds_read2_b64 v[0:3], v39 offset0:32 offset1:176
	s_waitcnt vmcnt(2)
	v_mul_f32_e32 v15, v7, v13
	v_mul_f32_e32 v7, v7, v12
	v_fmac_f32_e32 v7, v6, v13
	v_fma_f32 v12, v6, v12, -v15
	s_waitcnt lgkmcnt(0)
	v_mul_f32_e32 v13, v5, v3
	v_mul_f32_e32 v5, v5, v2
	s_waitcnt vmcnt(1)
	v_mul_f32_e32 v6, v11, v1
	v_mul_f32_e32 v11, v11, v0
	v_fma_f32 v2, v4, v2, -v13
	v_fmac_f32_e32 v5, v4, v3
	v_mul_f32_e32 v3, v9, v29
	v_mul_f32_e32 v4, v9, v28
	s_waitcnt vmcnt(0)
	v_mul_f32_e32 v9, v35, v31
	v_fma_f32 v0, v10, v0, -v6
	v_fmac_f32_e32 v11, v10, v1
	v_fma_f32 v1, v8, v28, -v3
	v_fma_f32 v3, v34, v30, -v9
	v_mul_f32_e32 v13, v34, v31
	v_fmac_f32_e32 v4, v8, v29
	v_sub_f32_e32 v6, v26, v12
	v_sub_f32_e32 v8, v0, v32
	;; [unrolled: 1-line block ×4, first 2 shown]
	v_fmac_f32_e32 v13, v35, v30
	v_sub_f32_e32 v7, v27, v7
	v_sub_f32_e32 v9, v11, v42
	;; [unrolled: 1-line block ×3, first 2 shown]
	v_fma_f32 v14, v26, 2.0, -v6
	v_fma_f32 v0, v0, 2.0, -v8
	;; [unrolled: 1-line block ×4, first 2 shown]
	v_sub_f32_e32 v13, v5, v13
	v_fma_f32 v15, v27, 2.0, -v7
	v_fma_f32 v11, v11, 2.0, -v9
	v_add_f32_e32 v29, v12, v3
	v_sub_f32_e32 v3, v14, v0
	v_sub_f32_e32 v2, v1, v2
	v_fma_f32 v4, v4, 2.0, -v12
	v_fma_f32 v5, v5, 2.0, -v13
	v_sub_f32_e32 v26, v6, v9
	v_add_f32_e32 v27, v7, v8
	v_sub_f32_e32 v28, v10, v13
	v_sub_f32_e32 v13, v15, v11
	v_fma_f32 v8, v14, 2.0, -v3
	v_fma_f32 v1, v1, 2.0, -v2
	;; [unrolled: 1-line block ×3, first 2 shown]
	v_sub_f32_e32 v0, v4, v5
	v_sub_f32_e32 v6, v8, v1
	v_add_f32_e32 v1, v13, v2
	v_mov_b32_e32 v2, v26
	v_fma_f32 v30, v7, 2.0, -v27
	v_fma_f32 v10, v10, 2.0, -v28
	;; [unrolled: 1-line block ×3, first 2 shown]
	v_mov_b32_e32 v4, v11
	v_fmac_f32_e32 v2, 0x3f3504f3, v28
	v_fma_f32 v12, v12, 2.0, -v29
	v_mov_b32_e32 v5, v30
	v_sub_f32_e32 v0, v3, v0
	v_fmac_f32_e32 v4, 0xbf3504f3, v10
	v_fmac_f32_e32 v2, 0xbf3504f3, v29
	v_fma_f32 v9, v15, 2.0, -v13
	v_fmac_f32_e32 v5, 0xbf3504f3, v12
	v_fmac_f32_e32 v4, 0xbf3504f3, v12
	v_fma_f32 v12, v3, 2.0, -v0
	v_mov_b32_e32 v3, v27
	v_fma_f32 v14, v26, 2.0, -v2
	v_mul_u32_u24_e32 v26, 0x60, v36
	v_sub_f32_e32 v7, v9, v7
	v_fmac_f32_e32 v5, 0x3f3504f3, v10
	v_fmac_f32_e32 v3, 0x3f3504f3, v29
	v_or_b32_sdwa v26, v26, v37 dst_sel:DWORD dst_unused:UNUSED_PAD src0_sel:DWORD src1_sel:BYTE_0
	v_fma_f32 v8, v8, 2.0, -v6
	v_fma_f32 v9, v9, 2.0, -v7
	;; [unrolled: 1-line block ×4, first 2 shown]
	v_fmac_f32_e32 v3, 0x3f3504f3, v28
	v_lshl_add_u32 v26, v26, 3, 0
	v_fma_f32 v13, v13, 2.0, -v1
	v_fma_f32 v15, v27, 2.0, -v3
	s_barrier
	ds_write2_b64 v26, v[8:9], v[10:11] offset1:12
	ds_write2_b64 v26, v[12:13], v[14:15] offset0:24 offset1:36
	ds_write2_b64 v26, v[6:7], v[4:5] offset0:48 offset1:60
	;; [unrolled: 1-line block ×3, first 2 shown]
	v_add_u32_e32 v8, 0xc00, v23
	s_waitcnt lgkmcnt(0)
	s_barrier
	ds_read2_b64 v[4:7], v23 offset1:144
	ds_read2_b64 v[8:11], v8 offset1:144
	ds_read2_b64 v[12:15], v38 offset1:144
	s_and_saveexec_b64 s[2:3], vcc
	s_cbranch_execz .LBB0_25
; %bb.24:
	v_add_u32_e32 v0, 0x100, v23
	ds_read2st64_b64 v[0:3], v0 offset0:4 offset1:10
	ds_read_b64 v[21:22], v23 offset:8448
.LBB0_25:
	s_or_b64 exec, exec, s[2:3]
	v_add_u32_e32 v26, 0xffffffa0, v20
	v_cndmask_b32_e32 v34, v26, v20, vcc
	v_lshlrev_b32_e32 v26, 1, v34
	v_mov_b32_e32 v27, 0
	v_lshlrev_b64 v[26:27], 3, v[26:27]
	v_mov_b32_e32 v28, s13
	v_add_co_u32_e64 v26, s[2:3], s12, v26
	s_mov_b32 s6, 0xaaab
	v_addc_co_u32_e64 v27, s[2:3], v28, v27, s[2:3]
	v_mul_u32_u24_sdwa v28, v24, s6 dst_sel:DWORD dst_unused:UNUSED_PAD src0_sel:WORD_0 src1_sel:DWORD
	v_lshrrev_b32_e32 v35, 22, v28
	v_mul_lo_u16_e32 v30, 0x60, v35
	v_sub_u16_e32 v24, v24, v30
	v_lshlrev_b32_e32 v30, 4, v24
	global_load_dwordx4 v[26:29], v[26:27], off offset:736
	s_movk_i32 s2, 0x5f
	global_load_dwordx4 v[30:33], v30, s[12:13] offset:736
	v_mov_b32_e32 v36, 0x900
	v_cmp_lt_u32_e64 s[2:3], s2, v20
	v_cndmask_b32_e64 v36, 0, v36, s[2:3]
	v_lshlrev_b32_e32 v34, 3, v34
	v_mul_u32_u24_e32 v35, 0x900, v35
	v_lshlrev_b32_e32 v24, 3, v24
	v_add3_u32 v34, 0, v36, v34
	v_add3_u32 v24, 0, v35, v24
	s_waitcnt vmcnt(0) lgkmcnt(0)
	s_barrier
	v_mul_f32_e32 v35, v27, v9
	v_mul_f32_e32 v27, v27, v8
	;; [unrolled: 1-line block ×8, first 2 shown]
	v_fma_f32 v8, v26, v8, -v35
	v_fmac_f32_e32 v27, v26, v9
	v_fma_f32 v9, v28, v12, -v36
	v_fmac_f32_e32 v29, v28, v13
	;; [unrolled: 2-line block ×4, first 2 shown]
	v_add_f32_e32 v13, v8, v9
	v_add_f32_e32 v15, v27, v29
	;; [unrolled: 1-line block ×3, first 2 shown]
	v_sub_f32_e32 v32, v31, v33
	v_add_f32_e32 v35, v7, v31
	v_add_f32_e32 v31, v31, v33
	;; [unrolled: 1-line block ×3, first 2 shown]
	v_sub_f32_e32 v26, v27, v29
	v_add_f32_e32 v14, v27, v5
	v_sub_f32_e32 v27, v8, v9
	v_add_f32_e32 v28, v6, v10
	v_fma_f32 v4, -0.5, v13, v4
	v_fma_f32 v5, -0.5, v15, v5
	;; [unrolled: 1-line block ×3, first 2 shown]
	v_fmac_f32_e32 v7, -0.5, v31
	v_sub_f32_e32 v36, v10, v11
	v_add_f32_e32 v8, v12, v9
	v_add_f32_e32 v9, v14, v29
	v_mov_b32_e32 v12, v4
	v_fmac_f32_e32 v4, 0xbf5db3d7, v26
	v_mov_b32_e32 v13, v5
	v_fmac_f32_e32 v5, 0x3f5db3d7, v27
	v_mov_b32_e32 v14, v6
	v_mov_b32_e32 v15, v7
	v_add_f32_e32 v10, v28, v11
	v_add_f32_e32 v11, v35, v33
	v_fmac_f32_e32 v6, 0xbf5db3d7, v32
	v_fmac_f32_e32 v7, 0x3f5db3d7, v36
	;; [unrolled: 1-line block ×6, first 2 shown]
	ds_write_b64 v34, v[4:5] offset:1536
	ds_write2_b64 v34, v[8:9], v[12:13] offset1:96
	ds_write2_b64 v24, v[10:11], v[14:15] offset1:96
	ds_write_b64 v24, v[6:7] offset:1536
	s_and_saveexec_b64 s[2:3], vcc
	s_cbranch_execz .LBB0_27
; %bb.26:
	v_mul_u32_u24_sdwa v4, v25, s6 dst_sel:DWORD dst_unused:UNUSED_PAD src0_sel:WORD_0 src1_sel:DWORD
	v_lshrrev_b32_e32 v4, 22, v4
	v_mul_lo_u16_e32 v4, 0x60, v4
	v_sub_u16_e32 v8, v25, v4
	v_lshlrev_b32_e32 v4, 4, v8
	global_load_dwordx4 v[4:7], v4, s[12:13] offset:736
	v_lshl_add_u32 v8, v8, 3, 0
	v_add_u32_e32 v9, 0x1800, v8
	s_waitcnt vmcnt(0)
	v_mul_f32_e32 v10, v21, v7
	v_mul_f32_e32 v11, v2, v5
	;; [unrolled: 1-line block ×4, first 2 shown]
	v_fmac_f32_e32 v10, v22, v6
	v_fmac_f32_e32 v11, v3, v4
	v_fma_f32 v2, v2, v4, -v5
	v_fma_f32 v4, v21, v6, -v7
	v_add_f32_e32 v7, v11, v10
	v_add_f32_e32 v12, v2, v4
	;; [unrolled: 1-line block ×4, first 2 shown]
	v_sub_f32_e32 v6, v2, v4
	v_sub_f32_e32 v11, v11, v10
	v_fmac_f32_e32 v1, -0.5, v7
	v_fmac_f32_e32 v0, -0.5, v12
	v_add_f32_e32 v3, v3, v10
	v_add_f32_e32 v2, v5, v4
	v_mov_b32_e32 v5, v1
	v_fmac_f32_e32 v1, 0xbf5db3d7, v6
	v_mov_b32_e32 v4, v0
	v_fmac_f32_e32 v0, 0x3f5db3d7, v11
	v_fmac_f32_e32 v5, 0x3f5db3d7, v6
	;; [unrolled: 1-line block ×3, first 2 shown]
	ds_write2_b64 v9, v[2:3], v[0:1] offset0:96 offset1:192
	ds_write_b64 v8, v[4:5] offset:8448
.LBB0_27:
	s_or_b64 exec, exec, s[2:3]
	v_mul_u32_u24_e32 v0, 3, v20
	v_lshlrev_b32_e32 v4, 3, v0
	v_mov_b32_e32 v5, s13
	v_add_co_u32_e32 v8, vcc, s12, v4
	s_movk_i32 s2, 0x1000
	v_addc_co_u32_e32 v9, vcc, 0, v5, vcc
	s_waitcnt lgkmcnt(0)
	s_barrier
	global_load_dwordx4 v[0:3], v4, s[12:13] offset:2272
	global_load_dwordx2 v[21:22], v4, s[12:13] offset:2288
	v_add_co_u32_e32 v4, vcc, s2, v8
	s_movk_i32 s3, 0x1660
	v_addc_co_u32_e32 v5, vcc, 0, v9, vcc
	v_add_co_u32_e32 v8, vcc, s3, v8
	v_addc_co_u32_e32 v9, vcc, 0, v9, vcc
	global_load_dwordx4 v[4:7], v[4:5], off offset:1632
	v_add_u32_e32 v34, 0x800, v23
	global_load_dwordx2 v[28:29], v[8:9], off offset:16
	ds_read_b64 v[30:31], v23 offset:6912
	v_add_u32_e32 v32, 0x1c00, v23
	ds_read2_b64 v[8:11], v23 offset1:144
	v_add_u32_e32 v35, 0x1000, v23
	ds_read2_b64 v[12:15], v34 offset0:32 offset1:176
	ds_read2_b64 v[24:27], v35 offset0:64 offset1:208
	ds_read2_b32 v[32:33], v32 offset0:224 offset1:225
	s_waitcnt vmcnt(0) lgkmcnt(0)
	s_barrier
	v_mul_f32_e32 v36, v1, v13
	v_mul_f32_e32 v1, v1, v12
	;; [unrolled: 1-line block ×6, first 2 shown]
	v_fma_f32 v12, v0, v12, -v36
	v_fmac_f32_e32 v1, v0, v13
	v_fma_f32 v0, v2, v24, -v37
	v_fmac_f32_e32 v3, v2, v25
	;; [unrolled: 2-line block ×3, first 2 shown]
	v_mul_f32_e32 v13, v5, v15
	v_mul_f32_e32 v21, v5, v14
	;; [unrolled: 1-line block ×6, first 2 shown]
	v_sub_f32_e32 v29, v8, v0
	v_sub_f32_e32 v30, v9, v3
	;; [unrolled: 1-line block ×4, first 2 shown]
	v_fma_f32 v13, v4, v14, -v13
	v_fmac_f32_e32 v21, v4, v15
	v_fma_f32 v14, v6, v26, -v5
	v_fmac_f32_e32 v7, v6, v27
	v_fma_f32 v6, v28, v32, -v24
	v_fmac_f32_e32 v25, v33, v28
	v_fma_f32 v8, v8, 2.0, -v29
	v_fma_f32 v9, v9, 2.0, -v30
	;; [unrolled: 1-line block ×4, first 2 shown]
	v_sub_f32_e32 v12, v10, v14
	v_sub_f32_e32 v14, v11, v7
	;; [unrolled: 1-line block ×4, first 2 shown]
	v_add_f32_e32 v1, v30, v2
	v_sub_f32_e32 v2, v8, v3
	v_sub_f32_e32 v3, v9, v4
	v_fma_f32 v24, v10, 2.0, -v12
	v_fma_f32 v25, v11, 2.0, -v14
	;; [unrolled: 1-line block ×5, first 2 shown]
	v_add_f32_e32 v9, v14, v15
	v_sub_f32_e32 v10, v24, v10
	v_sub_f32_e32 v11, v25, v11
	;; [unrolled: 1-line block ×3, first 2 shown]
	v_fma_f32 v6, v8, 2.0, -v2
	v_sub_f32_e32 v8, v12, v22
	v_fma_f32 v13, v14, 2.0, -v9
	v_fma_f32 v14, v24, 2.0, -v10
	v_fma_f32 v15, v25, 2.0, -v11
	v_fma_f32 v4, v29, 2.0, -v0
	v_fma_f32 v5, v30, 2.0, -v1
	v_fma_f32 v12, v12, 2.0, -v8
	ds_write2_b64 v23, v[6:7], v[14:15] offset1:144
	ds_write2_b64 v34, v[4:5], v[12:13] offset0:32 offset1:176
	ds_write2_b64 v35, v[2:3], v[10:11] offset0:64 offset1:208
	v_add_u32_e32 v2, 0x1800, v23
	ds_write2_b64 v2, v[0:1], v[8:9] offset0:96 offset1:240
	s_waitcnt lgkmcnt(0)
	s_barrier
	s_and_saveexec_b64 s[2:3], s[0:1]
	s_cbranch_execz .LBB0_29
; %bb.28:
	v_mul_lo_u32 v0, s5, v18
	v_mul_lo_u32 v1, s4, v19
	v_mad_u64_u32 v[4:5], s[0:1], s4, v18, 0
	v_mov_b32_e32 v7, s11
	v_lshl_add_u32 v6, v20, 3, 0
	v_add3_u32 v5, v5, v1, v0
	v_lshlrev_b64 v[4:5], 3, v[4:5]
	v_mov_b32_e32 v21, 0
	v_add_co_u32_e32 v8, vcc, s10, v4
	v_addc_co_u32_e32 v7, vcc, v7, v5, vcc
	v_lshlrev_b64 v[4:5], 3, v[16:17]
	ds_read2_b64 v[0:3], v6 offset1:144
	v_add_co_u32_e32 v8, vcc, v8, v4
	v_addc_co_u32_e32 v7, vcc, v7, v5, vcc
	v_lshlrev_b64 v[4:5], 3, v[20:21]
	v_add_co_u32_e32 v4, vcc, v8, v4
	v_addc_co_u32_e32 v5, vcc, v7, v5, vcc
	s_waitcnt lgkmcnt(0)
	global_store_dwordx2 v[4:5], v[0:1], off
	v_add_u32_e32 v0, 0x90, v20
	v_mov_b32_e32 v1, v21
	v_lshlrev_b64 v[0:1], 3, v[0:1]
	v_add_u32_e32 v4, 0x120, v20
	v_add_co_u32_e32 v0, vcc, v8, v0
	v_addc_co_u32_e32 v1, vcc, v7, v1, vcc
	global_store_dwordx2 v[0:1], v[2:3], off
	v_add_u32_e32 v0, 0x800, v6
	v_mov_b32_e32 v5, v21
	ds_read2_b64 v[0:3], v0 offset0:32 offset1:176
	v_lshlrev_b64 v[4:5], 3, v[4:5]
	v_add_co_u32_e32 v4, vcc, v8, v4
	v_addc_co_u32_e32 v5, vcc, v7, v5, vcc
	s_waitcnt lgkmcnt(0)
	global_store_dwordx2 v[4:5], v[0:1], off
	v_add_u32_e32 v0, 0x1b0, v20
	v_mov_b32_e32 v1, v21
	v_lshlrev_b64 v[0:1], 3, v[0:1]
	v_add_u32_e32 v4, 0x240, v20
	v_add_co_u32_e32 v0, vcc, v8, v0
	v_addc_co_u32_e32 v1, vcc, v7, v1, vcc
	global_store_dwordx2 v[0:1], v[2:3], off
	v_add_u32_e32 v0, 0x1000, v6
	v_mov_b32_e32 v5, v21
	ds_read2_b64 v[0:3], v0 offset0:64 offset1:208
	;; [unrolled: 15-line block ×3, first 2 shown]
	v_lshlrev_b64 v[4:5], 3, v[4:5]
	v_add_u32_e32 v20, 0x3f0, v20
	v_add_co_u32_e32 v4, vcc, v8, v4
	v_addc_co_u32_e32 v5, vcc, v7, v5, vcc
	s_waitcnt lgkmcnt(0)
	global_store_dwordx2 v[4:5], v[0:1], off
	v_lshlrev_b64 v[0:1], 3, v[20:21]
	v_add_co_u32_e32 v0, vcc, v8, v0
	v_addc_co_u32_e32 v1, vcc, v7, v1, vcc
	global_store_dwordx2 v[0:1], v[2:3], off
.LBB0_29:
	s_endpgm
	.section	.rodata,"a",@progbits
	.p2align	6, 0x0
	.amdhsa_kernel fft_rtc_fwd_len1152_factors_4_3_8_3_4_wgs_144_tpt_144_halfLds_sp_op_CI_CI_unitstride_sbrr_C2R_dirReg
		.amdhsa_group_segment_fixed_size 0
		.amdhsa_private_segment_fixed_size 0
		.amdhsa_kernarg_size 104
		.amdhsa_user_sgpr_count 6
		.amdhsa_user_sgpr_private_segment_buffer 1
		.amdhsa_user_sgpr_dispatch_ptr 0
		.amdhsa_user_sgpr_queue_ptr 0
		.amdhsa_user_sgpr_kernarg_segment_ptr 1
		.amdhsa_user_sgpr_dispatch_id 0
		.amdhsa_user_sgpr_flat_scratch_init 0
		.amdhsa_user_sgpr_private_segment_size 0
		.amdhsa_uses_dynamic_stack 0
		.amdhsa_system_sgpr_private_segment_wavefront_offset 0
		.amdhsa_system_sgpr_workgroup_id_x 1
		.amdhsa_system_sgpr_workgroup_id_y 0
		.amdhsa_system_sgpr_workgroup_id_z 0
		.amdhsa_system_sgpr_workgroup_info 0
		.amdhsa_system_vgpr_workitem_id 0
		.amdhsa_next_free_vgpr 43
		.amdhsa_next_free_sgpr 28
		.amdhsa_reserve_vcc 1
		.amdhsa_reserve_flat_scratch 0
		.amdhsa_float_round_mode_32 0
		.amdhsa_float_round_mode_16_64 0
		.amdhsa_float_denorm_mode_32 3
		.amdhsa_float_denorm_mode_16_64 3
		.amdhsa_dx10_clamp 1
		.amdhsa_ieee_mode 1
		.amdhsa_fp16_overflow 0
		.amdhsa_exception_fp_ieee_invalid_op 0
		.amdhsa_exception_fp_denorm_src 0
		.amdhsa_exception_fp_ieee_div_zero 0
		.amdhsa_exception_fp_ieee_overflow 0
		.amdhsa_exception_fp_ieee_underflow 0
		.amdhsa_exception_fp_ieee_inexact 0
		.amdhsa_exception_int_div_zero 0
	.end_amdhsa_kernel
	.text
.Lfunc_end0:
	.size	fft_rtc_fwd_len1152_factors_4_3_8_3_4_wgs_144_tpt_144_halfLds_sp_op_CI_CI_unitstride_sbrr_C2R_dirReg, .Lfunc_end0-fft_rtc_fwd_len1152_factors_4_3_8_3_4_wgs_144_tpt_144_halfLds_sp_op_CI_CI_unitstride_sbrr_C2R_dirReg
                                        ; -- End function
	.section	.AMDGPU.csdata,"",@progbits
; Kernel info:
; codeLenInByte = 5524
; NumSgprs: 32
; NumVgprs: 43
; ScratchSize: 0
; MemoryBound: 0
; FloatMode: 240
; IeeeMode: 1
; LDSByteSize: 0 bytes/workgroup (compile time only)
; SGPRBlocks: 3
; VGPRBlocks: 10
; NumSGPRsForWavesPerEU: 32
; NumVGPRsForWavesPerEU: 43
; Occupancy: 5
; WaveLimiterHint : 1
; COMPUTE_PGM_RSRC2:SCRATCH_EN: 0
; COMPUTE_PGM_RSRC2:USER_SGPR: 6
; COMPUTE_PGM_RSRC2:TRAP_HANDLER: 0
; COMPUTE_PGM_RSRC2:TGID_X_EN: 1
; COMPUTE_PGM_RSRC2:TGID_Y_EN: 0
; COMPUTE_PGM_RSRC2:TGID_Z_EN: 0
; COMPUTE_PGM_RSRC2:TIDIG_COMP_CNT: 0
	.type	__hip_cuid_fbeea1f483cc4e61,@object ; @__hip_cuid_fbeea1f483cc4e61
	.section	.bss,"aw",@nobits
	.globl	__hip_cuid_fbeea1f483cc4e61
__hip_cuid_fbeea1f483cc4e61:
	.byte	0                               ; 0x0
	.size	__hip_cuid_fbeea1f483cc4e61, 1

	.ident	"AMD clang version 19.0.0git (https://github.com/RadeonOpenCompute/llvm-project roc-6.4.0 25133 c7fe45cf4b819c5991fe208aaa96edf142730f1d)"
	.section	".note.GNU-stack","",@progbits
	.addrsig
	.addrsig_sym __hip_cuid_fbeea1f483cc4e61
	.amdgpu_metadata
---
amdhsa.kernels:
  - .args:
      - .actual_access:  read_only
        .address_space:  global
        .offset:         0
        .size:           8
        .value_kind:     global_buffer
      - .offset:         8
        .size:           8
        .value_kind:     by_value
      - .actual_access:  read_only
        .address_space:  global
        .offset:         16
        .size:           8
        .value_kind:     global_buffer
      - .actual_access:  read_only
        .address_space:  global
        .offset:         24
        .size:           8
        .value_kind:     global_buffer
      - .actual_access:  read_only
        .address_space:  global
        .offset:         32
        .size:           8
        .value_kind:     global_buffer
      - .offset:         40
        .size:           8
        .value_kind:     by_value
      - .actual_access:  read_only
        .address_space:  global
        .offset:         48
        .size:           8
        .value_kind:     global_buffer
      - .actual_access:  read_only
        .address_space:  global
        .offset:         56
        .size:           8
        .value_kind:     global_buffer
      - .offset:         64
        .size:           4
        .value_kind:     by_value
      - .actual_access:  read_only
        .address_space:  global
        .offset:         72
        .size:           8
        .value_kind:     global_buffer
      - .actual_access:  read_only
        .address_space:  global
        .offset:         80
        .size:           8
        .value_kind:     global_buffer
      - .actual_access:  read_only
        .address_space:  global
        .offset:         88
        .size:           8
        .value_kind:     global_buffer
      - .actual_access:  write_only
        .address_space:  global
        .offset:         96
        .size:           8
        .value_kind:     global_buffer
    .group_segment_fixed_size: 0
    .kernarg_segment_align: 8
    .kernarg_segment_size: 104
    .language:       OpenCL C
    .language_version:
      - 2
      - 0
    .max_flat_workgroup_size: 144
    .name:           fft_rtc_fwd_len1152_factors_4_3_8_3_4_wgs_144_tpt_144_halfLds_sp_op_CI_CI_unitstride_sbrr_C2R_dirReg
    .private_segment_fixed_size: 0
    .sgpr_count:     32
    .sgpr_spill_count: 0
    .symbol:         fft_rtc_fwd_len1152_factors_4_3_8_3_4_wgs_144_tpt_144_halfLds_sp_op_CI_CI_unitstride_sbrr_C2R_dirReg.kd
    .uniform_work_group_size: 1
    .uses_dynamic_stack: false
    .vgpr_count:     43
    .vgpr_spill_count: 0
    .wavefront_size: 64
amdhsa.target:   amdgcn-amd-amdhsa--gfx906
amdhsa.version:
  - 1
  - 2
...

	.end_amdgpu_metadata
